;; amdgpu-corpus repo=ROCm/rocFFT kind=compiled arch=gfx1201 opt=O3
	.text
	.amdgcn_target "amdgcn-amd-amdhsa--gfx1201"
	.amdhsa_code_object_version 6
	.protected	fft_rtc_fwd_len256_factors_4_4_4_4_wgs_256_tpt_32_sp_op_CI_CI_sbrc_unaligned_dirReg ; -- Begin function fft_rtc_fwd_len256_factors_4_4_4_4_wgs_256_tpt_32_sp_op_CI_CI_sbrc_unaligned_dirReg
	.globl	fft_rtc_fwd_len256_factors_4_4_4_4_wgs_256_tpt_32_sp_op_CI_CI_sbrc_unaligned_dirReg
	.p2align	8
	.type	fft_rtc_fwd_len256_factors_4_4_4_4_wgs_256_tpt_32_sp_op_CI_CI_sbrc_unaligned_dirReg,@function
fft_rtc_fwd_len256_factors_4_4_4_4_wgs_256_tpt_32_sp_op_CI_CI_sbrc_unaligned_dirReg: ; @fft_rtc_fwd_len256_factors_4_4_4_4_wgs_256_tpt_32_sp_op_CI_CI_sbrc_unaligned_dirReg
; %bb.0:
	s_clause 0x1
	s_load_b256 s[4:11], s[0:1], 0x0
	s_load_b64 s[26:27], s[0:1], 0x20
	s_mov_b32 s31, 0
	s_mov_b64 s[36:37], 2
	s_mov_b32 s23, s31
	s_wait_kmcnt 0x0
	s_load_b32 s33, s[8:9], 0x8
	s_load_b128 s[16:19], s[10:11], 0x0
	s_load_b128 s[12:15], s[26:27], 0x0
	s_wait_kmcnt 0x0
	s_add_co_i32 s2, s33, -1
	s_delay_alu instid0(SALU_CYCLE_1) | instskip(NEXT) | instid1(SALU_CYCLE_1)
	s_lshr_b32 s2, s2, 3
	s_add_co_i32 s42, s2, 1
	s_delay_alu instid0(SALU_CYCLE_1) | instskip(SKIP_1) | instid1(SALU_CYCLE_2)
	s_cvt_f32_u32 s2, s42
	s_sub_co_i32 s3, 0, s42
	v_rcp_iflag_f32_e32 v1, s2
	s_delay_alu instid0(TRANS32_DEP_1) | instskip(NEXT) | instid1(VALU_DEP_1)
	v_readfirstlane_b32 s2, v1
	s_mul_f32 s2, s2, 0x4f7ffffe
	s_wait_alu 0xfffe
	s_delay_alu instid0(SALU_CYCLE_2) | instskip(SKIP_1) | instid1(SALU_CYCLE_2)
	s_cvt_u32_f32 s2, s2
	s_wait_alu 0xfffe
	s_mul_i32 s3, s3, s2
	s_wait_alu 0xfffe
	s_mul_hi_u32 s3, s2, s3
	s_wait_alu 0xfffe
	s_add_co_i32 s2, s2, s3
	s_wait_alu 0xfffe
	s_mul_hi_u32 s3, ttmp9, s2
	s_wait_alu 0xfffe
	s_mul_i32 s2, s3, s42
	s_add_co_i32 s19, s3, 1
	s_wait_alu 0xfffe
	s_sub_co_i32 s15, ttmp9, s2
	s_mov_b32 s2, 3
	s_sub_co_i32 s20, s15, s42
	s_cmp_ge_u32 s15, s42
	s_cselect_b32 s3, s19, s3
	s_cselect_b32 s15, s20, s15
	s_wait_alu 0xfffe
	s_add_co_i32 s19, s3, 1
	s_cmp_ge_u32 s15, s42
	s_cselect_b32 s24, s19, s3
	v_cmp_gt_u64_e64 s3, s[6:7], 2
	s_mul_i32 s15, s24, s42
	s_delay_alu instid0(SALU_CYCLE_1) | instskip(NEXT) | instid1(SALU_CYCLE_1)
	s_sub_co_i32 s15, ttmp9, s15
	s_lshl_b32 s22, s15, 3
	s_delay_alu instid0(VALU_DEP_1)
	s_and_b32 vcc_lo, exec_lo, s3
	s_mul_i32 s30, s22, s18
	s_mul_u64 s[20:21], s[12:13], s[22:23]
	s_cbranch_vccz .LBB0_8
; %bb.1:
	s_mov_b32 s34, ttmp9
	s_mov_b32 s35, s31
	s_mov_b64 s[28:29], s[30:31]
	s_mov_b32 s30, s24
.LBB0_2:                                ; =>This Inner Loop Header: Depth=1
	s_lshl_b64 s[36:37], s[36:37], 3
	s_mov_b32 s38, s31
	s_add_nc_u64 s[24:25], s[8:9], s[36:37]
	s_load_b64 s[24:25], s[24:25], 0x0
	s_wait_kmcnt 0x0
	s_mov_b32 s39, s25
	s_delay_alu instid0(SALU_CYCLE_1)
	s_cmp_lg_u64 s[38:39], 0
	s_cbranch_scc0 .LBB0_7
; %bb.3:                                ;   in Loop: Header=BB0_2 Depth=1
	s_cvt_f32_u32 s3, s24
	s_cvt_f32_u32 s15, s25
	s_sub_nc_u64 s[44:45], 0, s[24:25]
	s_mov_b32 s39, 0
	s_mov_b32 s49, s31
	s_wait_alu 0xfffe
	s_fmamk_f32 s3, s15, 0x4f800000, s3
	s_wait_alu 0xfffe
	s_delay_alu instid0(SALU_CYCLE_2) | instskip(NEXT) | instid1(TRANS32_DEP_1)
	v_s_rcp_f32 s3, s3
	s_mul_f32 s3, s3, 0x5f7ffffc
	s_wait_alu 0xfffe
	s_delay_alu instid0(SALU_CYCLE_2) | instskip(NEXT) | instid1(SALU_CYCLE_3)
	s_mul_f32 s15, s3, 0x2f800000
	s_trunc_f32 s15, s15
	s_delay_alu instid0(SALU_CYCLE_3) | instskip(SKIP_2) | instid1(SALU_CYCLE_1)
	s_fmamk_f32 s3, s15, 0xcf800000, s3
	s_cvt_u32_f32 s41, s15
	s_wait_alu 0xfffe
	s_cvt_u32_f32 s40, s3
	s_wait_alu 0xfffe
	s_delay_alu instid0(SALU_CYCLE_2)
	s_mul_u64 s[46:47], s[44:45], s[40:41]
	s_wait_alu 0xfffe
	s_mul_hi_u32 s51, s40, s47
	s_mul_i32 s50, s40, s47
	s_mul_hi_u32 s38, s40, s46
	s_mul_i32 s15, s41, s46
	s_add_nc_u64 s[50:51], s[38:39], s[50:51]
	s_mul_hi_u32 s3, s41, s46
	s_mul_hi_u32 s19, s41, s47
	s_add_co_u32 s15, s50, s15
	s_wait_alu 0xfffe
	s_add_co_ci_u32 s48, s51, s3
	s_mul_i32 s46, s41, s47
	s_add_co_ci_u32 s47, s19, 0
	s_wait_alu 0xfffe
	s_add_nc_u64 s[46:47], s[48:49], s[46:47]
	s_wait_alu 0xfffe
	v_add_co_u32 v1, s3, s40, s46
	s_delay_alu instid0(VALU_DEP_1) | instskip(SKIP_1) | instid1(VALU_DEP_1)
	s_cmp_lg_u32 s3, 0
	s_add_co_ci_u32 s41, s41, s47
	v_readfirstlane_b32 s40, v1
	s_mov_b32 s47, s31
	s_wait_alu 0xfffe
	s_delay_alu instid0(VALU_DEP_1)
	s_mul_u64 s[44:45], s[44:45], s[40:41]
	s_wait_alu 0xfffe
	s_mul_hi_u32 s49, s40, s45
	s_mul_i32 s48, s40, s45
	s_mul_hi_u32 s38, s40, s44
	s_mul_i32 s15, s41, s44
	s_add_nc_u64 s[48:49], s[38:39], s[48:49]
	s_mul_hi_u32 s3, s41, s44
	s_mul_hi_u32 s19, s41, s45
	s_add_co_u32 s15, s48, s15
	s_wait_alu 0xfffe
	s_add_co_ci_u32 s46, s49, s3
	s_mul_i32 s44, s41, s45
	s_add_co_ci_u32 s45, s19, 0
	s_wait_alu 0xfffe
	s_add_nc_u64 s[44:45], s[46:47], s[44:45]
	s_mov_b32 s46, s31
	s_wait_alu 0xfffe
	v_add_co_u32 v1, s3, v1, s44
	s_delay_alu instid0(VALU_DEP_1) | instskip(SKIP_1) | instid1(VALU_DEP_1)
	s_cmp_lg_u32 s3, 0
	s_add_co_ci_u32 s15, s41, s45
	v_readfirstlane_b32 s3, v1
	s_mul_hi_u32 s45, s30, s15
	s_mul_i32 s44, s30, s15
	s_mov_b32 s41, s31
	s_delay_alu instid0(VALU_DEP_1)
	s_mul_hi_u32 s38, s30, s3
	s_wait_alu 0xfffe
	s_add_nc_u64 s[44:45], s[38:39], s[44:45]
	s_wait_alu 0xfffe
	s_mov_b32 s40, s45
	s_wait_alu 0xfffe
	s_or_b64 s[40:41], s[40:41], s[46:47]
	s_mov_b32 s40, s45
	s_wait_alu 0xfffe
	s_mul_u64 s[46:47], s[24:25], s[40:41]
	s_add_nc_u64 s[48:49], s[40:41], 1
	s_wait_alu 0xfffe
	v_sub_co_u32 v1, s3, s30, s46
	s_sub_co_i32 s15, 0, s47
	s_cmp_lg_u32 s3, 0
	s_add_nc_u64 s[50:51], s[40:41], 2
	s_delay_alu instid0(VALU_DEP_1) | instskip(SKIP_2) | instid1(VALU_DEP_1)
	v_sub_co_u32 v2, s19, v1, s24
	s_sub_co_ci_u32 s15, s15, s25
	s_cmp_lg_u32 s19, 0
	v_readfirstlane_b32 s19, v2
	s_sub_co_ci_u32 s15, s15, 0
	s_delay_alu instid0(SALU_CYCLE_1) | instskip(SKIP_1) | instid1(VALU_DEP_1)
	s_cmp_ge_u32 s15, s25
	s_cselect_b32 s23, -1, 0
	s_cmp_ge_u32 s19, s24
	s_cselect_b32 s19, -1, 0
	s_cmp_eq_u32 s15, s25
	s_cselect_b32 s15, s19, s23
	s_delay_alu instid0(SALU_CYCLE_1)
	s_cmp_lg_u32 s15, 0
	s_cselect_b32 s15, s50, s48
	s_cselect_b32 s19, s51, s49
	s_cmp_lg_u32 s3, 0
	v_readfirstlane_b32 s3, v1
	s_sub_co_ci_u32 s23, 0, s47
	s_delay_alu instid0(SALU_CYCLE_1) | instskip(SKIP_1) | instid1(VALU_DEP_1)
	s_cmp_ge_u32 s23, s25
	s_cselect_b32 s38, -1, 0
	s_cmp_ge_u32 s3, s24
	s_cselect_b32 s3, -1, 0
	s_cmp_eq_u32 s23, s25
	s_wait_alu 0xfffe
	s_cselect_b32 s3, s3, s38
	s_wait_alu 0xfffe
	s_cmp_lg_u32 s3, 0
	s_cselect_b32 s41, s19, s41
	s_cselect_b32 s40, s15, s45
	s_cbranch_execnz .LBB0_5
.LBB0_4:                                ;   in Loop: Header=BB0_2 Depth=1
	v_cvt_f32_u32_e32 v1, s24
	s_sub_co_i32 s15, 0, s24
	s_mov_b32 s41, s31
	s_delay_alu instid0(VALU_DEP_1) | instskip(NEXT) | instid1(TRANS32_DEP_1)
	v_rcp_iflag_f32_e32 v1, v1
	v_mul_f32_e32 v1, 0x4f7ffffe, v1
	s_delay_alu instid0(VALU_DEP_1) | instskip(NEXT) | instid1(VALU_DEP_1)
	v_cvt_u32_f32_e32 v1, v1
	v_readfirstlane_b32 s3, v1
	s_delay_alu instid0(VALU_DEP_1) | instskip(NEXT) | instid1(SALU_CYCLE_1)
	s_mul_i32 s15, s15, s3
	s_mul_hi_u32 s15, s3, s15
	s_delay_alu instid0(SALU_CYCLE_1)
	s_add_co_i32 s3, s3, s15
	s_wait_alu 0xfffe
	s_mul_hi_u32 s3, s30, s3
	s_wait_alu 0xfffe
	s_mul_i32 s15, s3, s24
	s_add_co_i32 s19, s3, 1
	s_sub_co_i32 s15, s30, s15
	s_delay_alu instid0(SALU_CYCLE_1)
	s_sub_co_i32 s23, s15, s24
	s_cmp_ge_u32 s15, s24
	s_cselect_b32 s3, s19, s3
	s_cselect_b32 s15, s23, s15
	s_wait_alu 0xfffe
	s_add_co_i32 s19, s3, 1
	s_cmp_ge_u32 s15, s24
	s_cselect_b32 s40, s19, s3
.LBB0_5:                                ;   in Loop: Header=BB0_2 Depth=1
	s_add_nc_u64 s[38:39], s[10:11], s[36:37]
	s_add_nc_u64 s[36:37], s[26:27], s[36:37]
	s_load_b64 s[38:39], s[38:39], 0x0
	s_load_b64 s[44:45], s[36:37], 0x0
	s_mov_b32 s3, s31
	s_mul_u64 s[36:37], s[40:41], s[24:25]
	s_wait_alu 0xfffe
	v_cmp_ge_u64_e64 s15, s[2:3], s[6:7]
	s_mul_i32 s42, s42, s24
	s_sub_nc_u64 s[24:25], s[30:31], s[36:37]
	s_mov_b64 s[36:37], s[2:3]
	s_add_co_i32 s2, s2, 1
	s_delay_alu instid0(VALU_DEP_1)
	s_and_b32 vcc_lo, exec_lo, s15
	s_wait_kmcnt 0x0
	s_wait_alu 0xfffe
	s_mul_u64 s[38:39], s[38:39], s[24:25]
	s_mul_u64 s[24:25], s[44:45], s[24:25]
	s_add_nc_u64 s[28:29], s[38:39], s[28:29]
	s_wait_alu 0xfffe
	s_add_nc_u64 s[20:21], s[24:25], s[20:21]
	s_cbranch_vccnz .LBB0_9
; %bb.6:                                ;   in Loop: Header=BB0_2 Depth=1
	s_mov_b32 s30, s40
	s_branch .LBB0_2
.LBB0_7:                                ;   in Loop: Header=BB0_2 Depth=1
                                        ; implicit-def: $sgpr40_sgpr41
	s_branch .LBB0_4
.LBB0_8:
	s_mov_b64 s[28:29], s[30:31]
	s_branch .LBB0_10
.LBB0_9:
	s_cvt_f32_u32 s2, s42
	s_sub_co_i32 s3, 0, s42
	s_wait_alu 0xfffe
	s_delay_alu instid0(SALU_CYCLE_1) | instskip(NEXT) | instid1(TRANS32_DEP_1)
	v_rcp_iflag_f32_e32 v1, s2
	v_readfirstlane_b32 s2, v1
	s_delay_alu instid0(VALU_DEP_1) | instskip(SKIP_1) | instid1(SALU_CYCLE_2)
	s_mul_f32 s2, s2, 0x4f7ffffe
	s_wait_alu 0xfffe
	s_cvt_u32_f32 s2, s2
	s_wait_alu 0xfffe
	s_delay_alu instid0(SALU_CYCLE_2)
	s_mul_i32 s3, s3, s2
	s_wait_alu 0xfffe
	s_mul_hi_u32 s8, s2, s3
	s_mov_b32 s3, 0
	s_add_co_i32 s2, s2, s8
	s_wait_alu 0xfffe
	s_mul_u64 s[2:3], s[34:35], s[2:3]
	s_wait_alu 0xfffe
	s_mul_i32 s2, s3, s42
	s_add_co_i32 s8, s3, 1
	s_wait_alu 0xfffe
	s_sub_co_i32 s2, ttmp9, s2
	s_wait_alu 0xfffe
	s_sub_co_i32 s9, s2, s42
	s_cmp_ge_u32 s2, s42
	s_cselect_b32 s3, s8, s3
	s_cselect_b32 s2, s9, s2
	s_wait_alu 0xfffe
	s_add_co_i32 s8, s3, 1
	s_cmp_ge_u32 s2, s42
	s_cselect_b32 s24, s8, s3
.LBB0_10:
	s_lshl_b64 s[6:7], s[6:7], 3
	s_load_b128 s[0:3], s[0:1], 0x58
	s_add_nc_u64 s[8:9], s[10:11], s[6:7]
	s_add_nc_u64 s[6:7], s[26:27], s[6:7]
	s_load_b64 s[8:9], s[8:9], 0x0
	s_load_b64 s[6:7], s[6:7], 0x0
	s_add_co_i32 s10, s22, 8
	s_mov_b32 s25, 0
	s_cmp_le_u32 s10, s33
	s_mov_b32 s11, -1
	s_cselect_b32 s10, -1, 0
	s_delay_alu instid0(SALU_CYCLE_1) | instskip(SKIP_3) | instid1(SALU_CYCLE_1)
	s_and_b32 vcc_lo, exec_lo, s10
	s_wait_kmcnt 0x0
	s_wait_alu 0xfffe
	s_mul_u64 s[8:9], s[8:9], s[24:25]
	s_add_nc_u64 s[8:9], s[8:9], s[28:29]
	s_cbranch_vccnz .LBB0_15
; %bb.11:
	s_cmp_lt_u32 s22, s33
	s_cselect_b32 s15, -1, 0
	s_delay_alu instid0(SALU_CYCLE_1)
	s_and_saveexec_b32 s11, s15
	s_cbranch_execz .LBB0_14
; %bb.12:
	v_mad_co_u64_u32 v[1:2], null, s16, v0, 0
	s_lshl_b64 s[26:27], s[8:9], 3
	v_lshl_add_u32 v4, v0, 6, 0
	s_add_nc_u64 s[26:27], s[0:1], s[26:27]
	s_mov_b32 s15, 0
	s_delay_alu instid0(VALU_DEP_2) | instskip(SKIP_1) | instid1(VALU_DEP_2)
	v_mad_co_u64_u32 v[2:3], null, s17, v0, v[2:3]
	v_mov_b32_e32 v3, s22
	v_lshlrev_b64_e32 v[5:6], 3, v[1:2]
	v_mov_b32_e32 v2, 0
	s_delay_alu instid0(VALU_DEP_1) | instskip(NEXT) | instid1(VALU_DEP_3)
	v_mov_b32_e32 v1, v2
	v_add_co_u32 v5, vcc_lo, s26, v5
	s_delay_alu instid0(VALU_DEP_4)
	v_add_co_ci_u32_e32 v6, vcc_lo, s27, v6, vcc_lo
.LBB0_13:                               ; =>This Inner Loop Header: Depth=1
	s_delay_alu instid0(VALU_DEP_3) | instskip(SKIP_2) | instid1(VALU_DEP_3)
	v_lshlrev_b64_e32 v[7:8], 3, v[1:2]
	v_add_nc_u32_e32 v3, 1, v3
	v_add_nc_u32_e32 v1, s18, v1
	v_add_co_u32 v7, vcc_lo, v5, v7
	s_wait_alu 0xfffd
	s_delay_alu instid0(VALU_DEP_4)
	v_add_co_ci_u32_e32 v8, vcc_lo, v6, v8, vcc_lo
	v_cmp_le_u32_e32 vcc_lo, s33, v3
	global_load_b64 v[7:8], v[7:8], off
	s_or_b32 s15, vcc_lo, s15
	s_wait_loadcnt 0x0
	ds_store_b64 v4, v[7:8]
	v_add_nc_u32_e32 v4, 8, v4
	s_and_not1_b32 exec_lo, exec_lo, s15
	s_cbranch_execnz .LBB0_13
.LBB0_14:
	s_or_b32 exec_lo, exec_lo, s11
	s_mov_b32 s11, 0
.LBB0_15:
	s_delay_alu instid0(SALU_CYCLE_1)
	s_and_not1_b32 vcc_lo, exec_lo, s11
	s_wait_alu 0xfffe
	s_cbranch_vccnz .LBB0_17
; %bb.16:
	v_mad_co_u64_u32 v[1:2], null, s16, v0, 0
	s_lshl_b64 s[8:9], s[8:9], 3
	s_mov_b32 s19, 0
	s_add_nc_u64 s[0:1], s[0:1], s[8:9]
	s_wait_alu 0xfffe
	s_lshl_b64 s[8:9], s[18:19], 3
	s_add_co_i32 s16, s18, s18
	s_mov_b32 s27, s19
	v_mad_co_u64_u32 v[2:3], null, s17, v0, v[2:3]
	s_mov_b32 s17, s19
	s_wait_alu 0xfffe
	s_add_co_i32 s26, s16, s18
	s_lshl_b64 s[16:17], s[16:17], 3
	s_wait_alu 0xfffe
	s_add_co_i32 s28, s26, s18
	s_lshl_b64 s[26:27], s[26:27], 3
	s_mov_b32 s29, s19
	v_lshlrev_b64_e32 v[1:2], 3, v[1:2]
	s_lshl_b64 s[34:35], s[28:29], 3
	s_mov_b32 s31, s19
	s_add_co_i32 s30, s28, s18
	v_lshl_add_u32 v17, v0, 6, 0
	s_delay_alu instid0(VALU_DEP_2)
	v_add_co_u32 v1, vcc_lo, s0, v1
	s_wait_alu 0xfffd
	v_add_co_ci_u32_e32 v2, vcc_lo, s1, v2, vcc_lo
	s_wait_alu 0xfffe
	s_lshl_b64 s[0:1], s[30:31], 3
	v_add_co_u32 v3, vcc_lo, v1, s8
	s_wait_alu 0xfffd
	v_add_co_ci_u32_e32 v4, vcc_lo, s9, v2, vcc_lo
	v_add_co_u32 v5, vcc_lo, v1, s16
	s_wait_alu 0xfffd
	v_add_co_ci_u32_e32 v6, vcc_lo, s17, v2, vcc_lo
	;; [unrolled: 3-line block ×4, first 2 shown]
	s_add_co_i32 s8, s30, s18
	s_mov_b32 s9, s19
	s_wait_alu 0xfffe
	v_add_co_u32 v11, vcc_lo, v1, s0
	s_wait_alu 0xfffd
	v_add_co_ci_u32_e32 v12, vcc_lo, s1, v2, vcc_lo
	s_lshl_b64 s[0:1], s[8:9], 3
	s_add_co_i32 s18, s8, s18
	s_wait_alu 0xfffe
	v_add_co_u32 v13, vcc_lo, v1, s0
	s_wait_alu 0xfffd
	v_add_co_ci_u32_e32 v14, vcc_lo, s1, v2, vcc_lo
	s_lshl_b64 s[0:1], s[18:19], 3
	s_wait_alu 0xfffe
	v_add_co_u32 v15, vcc_lo, v1, s0
	s_wait_alu 0xfffd
	v_add_co_ci_u32_e32 v16, vcc_lo, s1, v2, vcc_lo
	s_clause 0x7
	global_load_b64 v[1:2], v[1:2], off
	global_load_b64 v[3:4], v[3:4], off
	;; [unrolled: 1-line block ×8, first 2 shown]
	s_wait_loadcnt 0x6
	ds_store_2addr_b64 v17, v[1:2], v[3:4] offset1:1
	s_wait_loadcnt 0x4
	ds_store_2addr_b64 v17, v[5:6], v[7:8] offset0:2 offset1:3
	s_wait_loadcnt 0x2
	ds_store_2addr_b64 v17, v[9:10], v[11:12] offset0:4 offset1:5
	;; [unrolled: 2-line block ×3, first 2 shown]
.LBB0_17:
	v_lshrrev_b32_e32 v3, 3, v0
	v_and_b32_e32 v2, 7, v0
	global_wb scope:SCOPE_SE
	s_wait_dscnt 0x0
	s_barrier_signal -1
	s_barrier_wait -1
	v_lshlrev_b32_e32 v1, 6, v3
	v_lshlrev_b32_e32 v28, 3, v2
	global_inv scope:SCOPE_SE
	v_bfe_u32 v24, v0, 3, 2
	v_bfe_u32 v30, v0, 3, 4
	v_add3_u32 v1, 0, v1, v28
	ds_load_2addr_stride64_b64 v[5:8], v1 offset1:4
	ds_load_2addr_stride64_b64 v[9:12], v1 offset0:16 offset1:20
	ds_load_2addr_stride64_b64 v[13:16], v1 offset0:8 offset1:12
	;; [unrolled: 1-line block ×3, first 2 shown]
	v_mul_u32_u24_e32 v22, 3, v24
	v_mad_u32_u24 v23, 0xc0, v3, v1
	global_wb scope:SCOPE_SE
	s_wait_dscnt 0x0
	s_barrier_signal -1
	s_barrier_wait -1
	global_inv scope:SCOPE_SE
	v_mul_u32_u24_e32 v31, 3, v30
	v_sub_f32_e32 v26, v6, v10
	v_sub_f32_e32 v10, v14, v18
	v_add_nc_u32_e32 v4, 32, v3
	v_sub_f32_e32 v18, v8, v12
	s_delay_alu instid0(VALU_DEP_2) | instskip(NEXT) | instid1(VALU_DEP_1)
	v_lshlrev_b32_e32 v21, 8, v4
	v_add3_u32 v25, 0, v21, v28
	v_sub_f32_e32 v21, v5, v9
	v_sub_f32_e32 v9, v13, v17
	;; [unrolled: 1-line block ×4, first 2 shown]
	v_fma_f32 v14, v14, 2.0, -v10
	v_fma_f32 v19, v5, 2.0, -v21
	;; [unrolled: 1-line block ×3, first 2 shown]
	v_sub_f32_e32 v12, v16, v20
	v_fma_f32 v20, v6, 2.0, -v26
	v_add_f32_e32 v6, v26, v9
	v_fma_f32 v27, v7, 2.0, -v17
	v_sub_f32_e32 v9, v19, v13
	v_fma_f32 v29, v8, 2.0, -v18
	v_fma_f32 v15, v15, 2.0, -v11
	;; [unrolled: 1-line block ×3, first 2 shown]
	v_sub_f32_e32 v5, v21, v10
	v_dual_sub_f32 v7, v17, v12 :: v_dual_add_f32 v8, v18, v11
	s_delay_alu instid0(VALU_DEP_4) | instskip(NEXT) | instid1(VALU_DEP_4)
	v_dual_sub_f32 v10, v20, v14 :: v_dual_sub_f32 v13, v27, v15
	v_sub_f32_e32 v14, v29, v16
	s_delay_alu instid0(VALU_DEP_4)
	v_fma_f32 v11, v21, 2.0, -v5
	v_fma_f32 v12, v26, 2.0, -v6
	v_fma_f32 v15, v17, 2.0, -v7
	v_fma_f32 v16, v18, 2.0, -v8
	v_fma_f32 v17, v19, 2.0, -v9
	v_fma_f32 v18, v20, 2.0, -v10
	v_fma_f32 v19, v27, 2.0, -v13
	v_fma_f32 v20, v29, 2.0, -v14
	ds_store_2addr_b64 v23, v[17:18], v[11:12] offset1:8
	ds_store_2addr_b64 v23, v[9:10], v[5:6] offset0:16 offset1:24
	ds_store_2addr_b64 v25, v[19:20], v[15:16] offset1:8
	ds_store_2addr_b64 v25, v[13:14], v[7:8] offset0:16 offset1:24
	v_lshlrev_b32_e32 v5, 3, v22
	global_wb scope:SCOPE_SE
	s_wait_dscnt 0x0
	s_barrier_signal -1
	s_barrier_wait -1
	global_inv scope:SCOPE_SE
	s_clause 0x1
	global_load_b128 v[6:9], v5, s[4:5]
	global_load_b64 v[22:23], v5, s[4:5] offset:16
	ds_load_2addr_stride64_b64 v[10:13], v1 offset1:8
	ds_load_2addr_stride64_b64 v[14:17], v1 offset0:12 offset1:16
	v_lshlrev_b32_e32 v29, 2, v3
	v_lshlrev_b32_e32 v5, 2, v4
	ds_load_2addr_stride64_b64 v[18:21], v1 offset0:20 offset1:24
	v_mad_i32_i24 v0, 0xffffff40, v4, v25
	s_wait_loadcnt_dscnt 0x101
	v_mul_f32_e32 v36, v9, v17
	v_and_or_b32 v27, 0x3f0, v5, v24
	v_mul_f32_e32 v34, v7, v13
	v_and_or_b32 v26, 0x1f0, v29, v24
	ds_load_b64 v[24:25], v1 offset:14336
	v_mul_f32_e32 v35, v7, v12
	s_wait_loadcnt_dscnt 0x1
	v_dual_mul_f32 v38, v23, v21 :: v_dual_lshlrev_b32 v33, 6, v27
	v_lshlrev_b32_e32 v32, 6, v26
	ds_load_b64 v[26:27], v0
	v_lshlrev_b32_e32 v31, 3, v31
	v_dual_mul_f32 v37, v9, v16 :: v_dual_mul_f32 v40, v7, v15
	v_fma_f32 v12, v6, v12, -v34
	v_fmac_f32_e32 v35, v6, v13
	v_fma_f32 v13, v8, v16, -v36
	v_fma_f32 v16, v22, v20, -v38
	v_mul_f32_e32 v41, v7, v14
	v_mul_f32_e32 v7, v9, v19
	;; [unrolled: 1-line block ×3, first 2 shown]
	v_fma_f32 v14, v6, v14, -v40
	v_sub_f32_e32 v13, v10, v13
	v_fmac_f32_e32 v41, v6, v15
	v_fma_f32 v6, v8, v18, -v7
	s_wait_dscnt 0x1
	v_dual_mul_f32 v42, v23, v25 :: v_dual_fmac_f32 v9, v8, v19
	v_add3_u32 v32, 0, v32, v28
	v_add3_u32 v33, 0, v33, v28
	global_wb scope:SCOPE_SE
	s_wait_dscnt 0x0
	v_fma_f32 v7, v22, v24, -v42
	v_sub_f32_e32 v18, v27, v9
	s_barrier_signal -1
	s_barrier_wait -1
	global_inv scope:SCOPE_SE
	v_sub_f32_e32 v9, v14, v7
	s_delay_alu instid0(VALU_DEP_1) | instskip(SKIP_4) | instid1(VALU_DEP_4)
	v_fma_f32 v14, v14, 2.0, -v9
	v_fmac_f32_e32 v37, v8, v17
	v_dual_sub_f32 v8, v12, v16 :: v_dual_sub_f32 v17, v26, v6
	v_mul_f32_e32 v39, v23, v20
	v_fma_f32 v20, v10, 2.0, -v13
	v_sub_f32_e32 v15, v11, v37
	s_delay_alu instid0(VALU_DEP_4) | instskip(SKIP_3) | instid1(VALU_DEP_4)
	v_fma_f32 v10, v12, 2.0, -v8
	v_mul_f32_e32 v23, v23, v24
	v_add_f32_e32 v9, v18, v9
	v_or_b32_e32 v24, s22, v2
	v_dual_add_f32 v7, v15, v8 :: v_dual_sub_f32 v10, v20, v10
	s_delay_alu instid0(VALU_DEP_4) | instskip(NEXT) | instid1(VALU_DEP_3)
	v_fmac_f32_e32 v23, v22, v25
	v_cmp_gt_u32_e32 vcc_lo, s33, v24
	s_delay_alu instid0(VALU_DEP_2) | instskip(SKIP_3) | instid1(VALU_DEP_3)
	v_sub_f32_e32 v19, v41, v23
	v_fma_f32 v23, v27, 2.0, -v18
	v_and_or_b32 v27, 0x3c0, v5, v30
	s_or_b32 s0, s10, vcc_lo
	v_dual_sub_f32 v8, v17, v19 :: v_dual_fmac_f32 v39, v22, v21
	v_fma_f32 v22, v26, 2.0, -v17
	v_and_or_b32 v26, 0x1c0, v29, v30
	v_lshlrev_b32_e32 v30, 6, v27
	v_fma_f32 v21, v11, 2.0, -v15
	v_sub_f32_e32 v16, v35, v39
	v_sub_f32_e32 v14, v22, v14
	s_delay_alu instid0(VALU_DEP_2) | instskip(SKIP_2) | instid1(VALU_DEP_3)
	v_dual_sub_f32 v6, v13, v16 :: v_dual_lshlrev_b32 v29, 6, v26
	v_fma_f32 v11, v35, 2.0, -v16
	v_fma_f32 v16, v41, 2.0, -v19
	v_add3_u32 v29, 0, v29, v28
	v_add3_u32 v28, 0, v30, v28
	v_fma_f32 v12, v13, 2.0, -v6
	v_sub_f32_e32 v11, v21, v11
	v_fma_f32 v13, v15, 2.0, -v7
	v_sub_f32_e32 v15, v23, v16
	v_fma_f32 v16, v17, 2.0, -v8
	v_fma_f32 v17, v18, 2.0, -v9
	;; [unrolled: 1-line block ×6, first 2 shown]
	ds_store_2addr_b64 v32, v[10:11], v[6:7] offset0:64 offset1:96
	ds_store_2addr_b64 v32, v[18:19], v[12:13] offset1:32
	ds_store_2addr_b64 v33, v[20:21], v[16:17] offset1:32
	ds_store_2addr_b64 v33, v[14:15], v[8:9] offset0:64 offset1:96
	global_wb scope:SCOPE_SE
	s_wait_dscnt 0x0
	s_barrier_signal -1
	s_barrier_wait -1
	global_inv scope:SCOPE_SE
	s_clause 0x1
	global_load_b128 v[6:9], v31, s[4:5] offset:96
	global_load_b64 v[22:23], v31, s[4:5] offset:112
	ds_load_2addr_stride64_b64 v[10:13], v1 offset1:8
	ds_load_2addr_stride64_b64 v[14:17], v1 offset0:12 offset1:16
	ds_load_2addr_stride64_b64 v[18:21], v1 offset0:20 offset1:24
	ds_load_b64 v[24:25], v1 offset:14336
	ds_load_b64 v[26:27], v0
	global_wb scope:SCOPE_SE
	s_wait_loadcnt_dscnt 0x0
	s_barrier_signal -1
	s_barrier_wait -1
	global_inv scope:SCOPE_SE
	v_mul_f32_e32 v30, v7, v13
	v_dual_mul_f32 v31, v7, v12 :: v_dual_mul_f32 v32, v9, v17
	v_dual_mul_f32 v33, v9, v16 :: v_dual_mul_f32 v34, v23, v21
	v_mul_f32_e32 v35, v23, v20
	v_mul_f32_e32 v36, v7, v15
	;; [unrolled: 1-line block ×4, first 2 shown]
	v_dual_mul_f32 v9, v9, v18 :: v_dual_mul_f32 v38, v23, v25
	v_mul_f32_e32 v23, v23, v24
	v_fma_f32 v12, v6, v12, -v30
	v_fmac_f32_e32 v31, v6, v13
	v_fma_f32 v13, v8, v16, -v32
	v_fmac_f32_e32 v33, v8, v17
	v_fma_f32 v16, v22, v20, -v34
	v_fmac_f32_e32 v35, v22, v21
	v_fma_f32 v14, v6, v14, -v36
	v_fmac_f32_e32 v37, v6, v15
	v_fma_f32 v6, v8, v18, -v7
	v_fmac_f32_e32 v9, v8, v19
	v_fma_f32 v7, v22, v24, -v38
	v_fmac_f32_e32 v23, v22, v25
	v_sub_f32_e32 v13, v10, v13
	v_dual_sub_f32 v15, v11, v33 :: v_dual_sub_f32 v8, v12, v16
	v_dual_sub_f32 v16, v31, v35 :: v_dual_sub_f32 v17, v26, v6
	;; [unrolled: 1-line block ×3, first 2 shown]
	v_sub_f32_e32 v19, v37, v23
	v_fma_f32 v20, v10, 2.0, -v13
	v_fma_f32 v21, v11, 2.0, -v15
	;; [unrolled: 1-line block ×4, first 2 shown]
	v_sub_f32_e32 v6, v13, v16
	v_add_f32_e32 v7, v15, v8
	v_fma_f32 v22, v26, 2.0, -v17
	v_fma_f32 v23, v27, 2.0, -v18
	;; [unrolled: 1-line block ×4, first 2 shown]
	v_dual_sub_f32 v8, v17, v19 :: v_dual_add_f32 v9, v18, v9
	v_dual_sub_f32 v10, v20, v10 :: v_dual_sub_f32 v11, v21, v11
	v_fma_f32 v12, v13, 2.0, -v6
	v_fma_f32 v13, v15, 2.0, -v7
	v_dual_sub_f32 v14, v22, v14 :: v_dual_sub_f32 v15, v23, v16
	v_fma_f32 v16, v17, 2.0, -v8
	v_fma_f32 v17, v18, 2.0, -v9
	;; [unrolled: 1-line block ×6, first 2 shown]
	ds_store_2addr_stride64_b64 v29, v[10:11], v[6:7] offset0:4 offset1:6
	ds_store_2addr_stride64_b64 v29, v[18:19], v[12:13] offset1:2
	ds_store_2addr_stride64_b64 v28, v[20:21], v[16:17] offset1:2
	ds_store_2addr_stride64_b64 v28, v[14:15], v[8:9] offset0:4 offset1:6
	global_wb scope:SCOPE_SE
	s_wait_dscnt 0x0
	s_barrier_signal -1
	s_barrier_wait -1
	global_inv scope:SCOPE_SE
	s_wait_alu 0xfffe
	s_and_saveexec_b32 s1, s0
	s_cbranch_execz .LBB0_19
; %bb.18:
	v_mul_u32_u24_e32 v6, 3, v3
	v_dual_mov_b32 v27, 0 :: v_dual_and_b32 v4, 63, v4
	v_mad_co_u64_u32 v[18:19], null, s12, v2, 0
	s_delay_alu instid0(VALU_DEP_3) | instskip(NEXT) | instid1(VALU_DEP_3)
	v_lshlrev_b32_e32 v10, 3, v6
	v_mul_u32_u24_e32 v11, 3, v4
	v_mul_lo_u32 v26, v3, s14
	s_lshl_b32 s8, s14, 6
	s_mul_u64 s[0:1], s[6:7], s[24:25]
	s_delay_alu instid0(VALU_DEP_4)
	v_mov_b32_e32 v3, v19
	global_load_b128 v[6:9], v10, s[4:5] offset:480
	v_lshlrev_b32_e32 v14, 3, v11
	s_clause 0x2
	global_load_b64 v[22:23], v10, s[4:5] offset:496
	global_load_b128 v[10:13], v14, s[4:5] offset:480
	global_load_b64 v[24:25], v14, s[4:5] offset:496
	v_mad_co_u64_u32 v[19:20], null, s13, v2, v[3:4]
	v_and_or_b32 v20, 0x300, v5, v4
	ds_load_2addr_stride64_b64 v[2:5], v1 offset0:20 offset1:24
	ds_load_2addr_stride64_b64 v[14:17], v1 offset0:12 offset1:16
	v_lshlrev_b64_e32 v[28:29], 3, v[26:27]
	s_wait_alu 0xfffe
	v_add_nc_u32_e32 v26, s8, v26
	ds_load_b64 v[36:37], v0
	ds_load_b64 v[38:39], v1 offset:14336
	s_lshl_b64 s[0:1], s[0:1], 3
	v_lshlrev_b64_e32 v[40:41], 3, v[18:19]
	s_lshl_b64 s[4:5], s[20:21], 3
	v_lshlrev_b64_e32 v[30:31], 3, v[26:27]
	v_add_nc_u32_e32 v26, s8, v26
	s_wait_alu 0xfffe
	s_add_nc_u64 s[0:1], s[2:3], s[0:1]
	s_wait_alu 0xfffe
	s_add_nc_u64 s[0:1], s[0:1], s[4:5]
	v_lshlrev_b64_e32 v[32:33], 3, v[26:27]
	v_add_nc_u32_e32 v26, s8, v26
	s_wait_alu 0xfffe
	v_add_co_u32 v44, vcc_lo, s0, v40
	s_wait_alu 0xfffd
	v_add_co_ci_u32_e32 v45, vcc_lo, s1, v41, vcc_lo
	s_delay_alu instid0(VALU_DEP_2) | instskip(SKIP_1) | instid1(VALU_DEP_2)
	v_add_co_u32 v28, vcc_lo, v44, v28
	s_wait_alu 0xfffd
	v_add_co_ci_u32_e32 v29, vcc_lo, v45, v29, vcc_lo
	v_add_co_u32 v30, vcc_lo, v44, v30
	s_wait_alu 0xfffd
	v_add_co_ci_u32_e32 v31, vcc_lo, v45, v31, vcc_lo
	;; [unrolled: 3-line block ×3, first 2 shown]
	s_wait_loadcnt_dscnt 0x103
	v_dual_mul_f32 v46, v23, v5 :: v_dual_mul_f32 v47, v13, v2
	v_mul_f32_e32 v23, v23, v4
	v_lshlrev_b64_e32 v[34:35], 3, v[26:27]
	v_mul_lo_u32 v26, v20, s14
	ds_load_2addr_stride64_b64 v[18:21], v1 offset1:8
	s_wait_loadcnt_dscnt 0x1
	v_mul_f32_e32 v49, v39, v25
	v_dual_mul_f32 v48, v11, v15 :: v_dual_mul_f32 v25, v25, v38
	v_add_co_u32 v34, vcc_lo, v44, v34
	v_mul_f32_e32 v13, v13, v3
	v_lshlrev_b64_e32 v[0:1], 3, v[26:27]
	v_add_nc_u32_e32 v26, s8, v26
	s_wait_alu 0xfffd
	v_add_co_ci_u32_e32 v35, vcc_lo, v45, v35, vcc_lo
	v_fma_f32 v4, v22, v4, -v46
	v_fma_f32 v2, v12, v2, -v13
	v_lshlrev_b64_e32 v[40:41], 3, v[26:27]
	v_add_nc_u32_e32 v26, s8, v26
	v_add_co_u32 v0, vcc_lo, v44, v0
	s_wait_alu 0xfffd
	v_add_co_ci_u32_e32 v1, vcc_lo, v45, v1, vcc_lo
	s_delay_alu instid0(VALU_DEP_3) | instskip(SKIP_4) | instid1(VALU_DEP_3)
	v_lshlrev_b64_e32 v[42:43], 3, v[26:27]
	v_add_nc_u32_e32 v26, s8, v26
	v_add_co_u32 v40, vcc_lo, v44, v40
	s_wait_alu 0xfffd
	v_add_co_ci_u32_e32 v41, vcc_lo, v45, v41, vcc_lo
	v_lshlrev_b64_e32 v[26:27], 3, v[26:27]
	v_add_co_u32 v42, vcc_lo, v44, v42
	s_wait_alu 0xfffd
	v_add_co_ci_u32_e32 v43, vcc_lo, v45, v43, vcc_lo
	v_mul_f32_e32 v11, v11, v14
	s_delay_alu instid0(VALU_DEP_4)
	v_add_co_u32 v26, vcc_lo, v44, v26
	v_mul_f32_e32 v44, v9, v16
	v_mul_f32_e32 v9, v9, v17
	s_wait_alu 0xfffd
	v_add_co_ci_u32_e32 v27, vcc_lo, v45, v27, vcc_lo
	s_wait_dscnt 0x0
	v_mul_f32_e32 v45, v7, v21
	v_dual_mul_f32 v7, v7, v20 :: v_dual_fmac_f32 v44, v8, v17
	v_fmac_f32_e32 v11, v10, v15
	v_fma_f32 v8, v8, v16, -v9
	s_delay_alu instid0(VALU_DEP_4) | instskip(NEXT) | instid1(VALU_DEP_4)
	v_fma_f32 v17, v6, v20, -v45
	v_fmac_f32_e32 v7, v6, v21
	v_fmac_f32_e32 v23, v22, v5
	;; [unrolled: 1-line block ×3, first 2 shown]
	v_fma_f32 v6, v10, v14, -v48
	v_sub_f32_e32 v10, v18, v8
	v_fma_f32 v3, v24, v38, -v49
	s_delay_alu instid0(VALU_DEP_4) | instskip(SKIP_2) | instid1(VALU_DEP_4)
	v_dual_fmac_f32 v25, v39, v24 :: v_dual_sub_f32 v14, v37, v47
	v_sub_f32_e32 v9, v19, v44
	v_sub_f32_e32 v4, v17, v4
	;; [unrolled: 1-line block ×3, first 2 shown]
	v_dual_sub_f32 v5, v7, v23 :: v_dual_sub_f32 v16, v36, v2
	s_delay_alu instid0(VALU_DEP_3) | instskip(SKIP_1) | instid1(VALU_DEP_3)
	v_dual_sub_f32 v12, v11, v25 :: v_dual_add_f32 v3, v9, v4
	v_fma_f32 v13, v19, 2.0, -v9
	v_fma_f32 v15, v7, 2.0, -v5
	;; [unrolled: 1-line block ×4, first 2 shown]
	v_sub_f32_e32 v2, v10, v5
	v_fma_f32 v19, v37, 2.0, -v14
	v_fma_f32 v11, v11, 2.0, -v12
	v_sub_f32_e32 v4, v16, v12
	v_fma_f32 v20, v36, 2.0, -v16
	v_fma_f32 v12, v6, 2.0, -v8
	v_add_f32_e32 v5, v14, v8
	v_sub_f32_e32 v11, v19, v11
	v_fma_f32 v7, v9, 2.0, -v3
	v_dual_sub_f32 v9, v13, v15 :: v_dual_sub_f32 v8, v18, v17
	v_fma_f32 v6, v10, 2.0, -v2
	v_sub_f32_e32 v10, v20, v12
	v_fma_f32 v15, v14, 2.0, -v5
	s_delay_alu instid0(VALU_DEP_4)
	v_fma_f32 v13, v13, 2.0, -v9
	v_fma_f32 v12, v18, 2.0, -v8
	v_fma_f32 v14, v16, 2.0, -v4
	v_fma_f32 v17, v19, 2.0, -v11
	v_fma_f32 v16, v20, 2.0, -v10
	s_clause 0x7
	global_store_b64 v[28:29], v[12:13], off
	global_store_b64 v[30:31], v[6:7], off
	;; [unrolled: 1-line block ×8, first 2 shown]
.LBB0_19:
	s_nop 0
	s_sendmsg sendmsg(MSG_DEALLOC_VGPRS)
	s_endpgm
	.section	.rodata,"a",@progbits
	.p2align	6, 0x0
	.amdhsa_kernel fft_rtc_fwd_len256_factors_4_4_4_4_wgs_256_tpt_32_sp_op_CI_CI_sbrc_unaligned_dirReg
		.amdhsa_group_segment_fixed_size 0
		.amdhsa_private_segment_fixed_size 0
		.amdhsa_kernarg_size 104
		.amdhsa_user_sgpr_count 2
		.amdhsa_user_sgpr_dispatch_ptr 0
		.amdhsa_user_sgpr_queue_ptr 0
		.amdhsa_user_sgpr_kernarg_segment_ptr 1
		.amdhsa_user_sgpr_dispatch_id 0
		.amdhsa_user_sgpr_private_segment_size 0
		.amdhsa_wavefront_size32 1
		.amdhsa_uses_dynamic_stack 0
		.amdhsa_enable_private_segment 0
		.amdhsa_system_sgpr_workgroup_id_x 1
		.amdhsa_system_sgpr_workgroup_id_y 0
		.amdhsa_system_sgpr_workgroup_id_z 0
		.amdhsa_system_sgpr_workgroup_info 0
		.amdhsa_system_vgpr_workitem_id 0
		.amdhsa_next_free_vgpr 50
		.amdhsa_next_free_sgpr 52
		.amdhsa_reserve_vcc 1
		.amdhsa_float_round_mode_32 0
		.amdhsa_float_round_mode_16_64 0
		.amdhsa_float_denorm_mode_32 3
		.amdhsa_float_denorm_mode_16_64 3
		.amdhsa_fp16_overflow 0
		.amdhsa_workgroup_processor_mode 1
		.amdhsa_memory_ordered 1
		.amdhsa_forward_progress 0
		.amdhsa_round_robin_scheduling 0
		.amdhsa_exception_fp_ieee_invalid_op 0
		.amdhsa_exception_fp_denorm_src 0
		.amdhsa_exception_fp_ieee_div_zero 0
		.amdhsa_exception_fp_ieee_overflow 0
		.amdhsa_exception_fp_ieee_underflow 0
		.amdhsa_exception_fp_ieee_inexact 0
		.amdhsa_exception_int_div_zero 0
	.end_amdhsa_kernel
	.text
.Lfunc_end0:
	.size	fft_rtc_fwd_len256_factors_4_4_4_4_wgs_256_tpt_32_sp_op_CI_CI_sbrc_unaligned_dirReg, .Lfunc_end0-fft_rtc_fwd_len256_factors_4_4_4_4_wgs_256_tpt_32_sp_op_CI_CI_sbrc_unaligned_dirReg
                                        ; -- End function
	.section	.AMDGPU.csdata,"",@progbits
; Kernel info:
; codeLenInByte = 4400
; NumSgprs: 54
; NumVgprs: 50
; ScratchSize: 0
; MemoryBound: 0
; FloatMode: 240
; IeeeMode: 1
; LDSByteSize: 0 bytes/workgroup (compile time only)
; SGPRBlocks: 6
; VGPRBlocks: 6
; NumSGPRsForWavesPerEU: 54
; NumVGPRsForWavesPerEU: 50
; Occupancy: 16
; WaveLimiterHint : 1
; COMPUTE_PGM_RSRC2:SCRATCH_EN: 0
; COMPUTE_PGM_RSRC2:USER_SGPR: 2
; COMPUTE_PGM_RSRC2:TRAP_HANDLER: 0
; COMPUTE_PGM_RSRC2:TGID_X_EN: 1
; COMPUTE_PGM_RSRC2:TGID_Y_EN: 0
; COMPUTE_PGM_RSRC2:TGID_Z_EN: 0
; COMPUTE_PGM_RSRC2:TIDIG_COMP_CNT: 0
	.text
	.p2alignl 7, 3214868480
	.fill 96, 4, 3214868480
	.type	__hip_cuid_bbf585a5a1d28615,@object ; @__hip_cuid_bbf585a5a1d28615
	.section	.bss,"aw",@nobits
	.globl	__hip_cuid_bbf585a5a1d28615
__hip_cuid_bbf585a5a1d28615:
	.byte	0                               ; 0x0
	.size	__hip_cuid_bbf585a5a1d28615, 1

	.ident	"AMD clang version 19.0.0git (https://github.com/RadeonOpenCompute/llvm-project roc-6.4.0 25133 c7fe45cf4b819c5991fe208aaa96edf142730f1d)"
	.section	".note.GNU-stack","",@progbits
	.addrsig
	.addrsig_sym __hip_cuid_bbf585a5a1d28615
	.amdgpu_metadata
---
amdhsa.kernels:
  - .args:
      - .actual_access:  read_only
        .address_space:  global
        .offset:         0
        .size:           8
        .value_kind:     global_buffer
      - .offset:         8
        .size:           8
        .value_kind:     by_value
      - .actual_access:  read_only
        .address_space:  global
        .offset:         16
        .size:           8
        .value_kind:     global_buffer
      - .actual_access:  read_only
        .address_space:  global
        .offset:         24
        .size:           8
        .value_kind:     global_buffer
      - .actual_access:  read_only
        .address_space:  global
        .offset:         32
        .size:           8
        .value_kind:     global_buffer
      - .offset:         40
        .size:           8
        .value_kind:     by_value
      - .actual_access:  read_only
        .address_space:  global
        .offset:         48
        .size:           8
        .value_kind:     global_buffer
      - .actual_access:  read_only
        .address_space:  global
        .offset:         56
        .size:           8
        .value_kind:     global_buffer
      - .offset:         64
        .size:           4
        .value_kind:     by_value
      - .actual_access:  read_only
        .address_space:  global
        .offset:         72
        .size:           8
        .value_kind:     global_buffer
      - .actual_access:  read_only
        .address_space:  global
        .offset:         80
        .size:           8
        .value_kind:     global_buffer
      - .actual_access:  read_only
        .address_space:  global
        .offset:         88
        .size:           8
        .value_kind:     global_buffer
      - .actual_access:  write_only
        .address_space:  global
        .offset:         96
        .size:           8
        .value_kind:     global_buffer
    .group_segment_fixed_size: 0
    .kernarg_segment_align: 8
    .kernarg_segment_size: 104
    .language:       OpenCL C
    .language_version:
      - 2
      - 0
    .max_flat_workgroup_size: 256
    .name:           fft_rtc_fwd_len256_factors_4_4_4_4_wgs_256_tpt_32_sp_op_CI_CI_sbrc_unaligned_dirReg
    .private_segment_fixed_size: 0
    .sgpr_count:     54
    .sgpr_spill_count: 0
    .symbol:         fft_rtc_fwd_len256_factors_4_4_4_4_wgs_256_tpt_32_sp_op_CI_CI_sbrc_unaligned_dirReg.kd
    .uniform_work_group_size: 1
    .uses_dynamic_stack: false
    .vgpr_count:     50
    .vgpr_spill_count: 0
    .wavefront_size: 32
    .workgroup_processor_mode: 1
amdhsa.target:   amdgcn-amd-amdhsa--gfx1201
amdhsa.version:
  - 1
  - 2
...

	.end_amdgpu_metadata
